;; amdgpu-corpus repo=tuanlda78202/gpt-oss-amd kind=compiled arch=gfx1100 opt=O3
	.text
	.amdgcn_target "amdgcn-amd-amdhsa--gfx1100"
	.amdhsa_code_object_version 6
	.protected	_Z19embed_kernel_scalarPK14__hip_bfloat16PKiPfii ; -- Begin function _Z19embed_kernel_scalarPK14__hip_bfloat16PKiPfii
	.globl	_Z19embed_kernel_scalarPK14__hip_bfloat16PKiPfii
	.p2align	8
	.type	_Z19embed_kernel_scalarPK14__hip_bfloat16PKiPfii,@function
_Z19embed_kernel_scalarPK14__hip_bfloat16PKiPfii: ; @_Z19embed_kernel_scalarPK14__hip_bfloat16PKiPfii
; %bb.0:
	s_clause 0x1
	s_load_b32 s3, s[0:1], 0x2c
	s_load_b64 s[4:5], s[0:1], 0x18
	s_waitcnt lgkmcnt(0)
	s_and_b32 s3, s3, 0xffff
	s_cmp_lt_i32 s15, s4
	v_mad_u64_u32 v[1:2], null, s14, s3, v[0:1]
	s_cselect_b32 s3, -1, 0
	s_delay_alu instid0(VALU_DEP_1) | instskip(SKIP_1) | instid1(SALU_CYCLE_1)
	v_cmp_gt_i32_e32 vcc_lo, s5, v1
	s_and_b32 s3, s3, vcc_lo
	s_and_saveexec_b32 s4, s3
	s_cbranch_execz .LBB0_4
; %bb.1:
	s_clause 0x1
	s_load_b64 s[8:9], s[0:1], 0x0
	s_load_b64 s[6:7], s[0:1], 0x10
	s_mov_b32 s2, s15
	s_mov_b32 s4, exec_lo
	v_cmpx_eq_u32_e32 0, v0
	s_cbranch_execz .LBB0_3
; %bb.2:
	s_load_b64 s[0:1], s[0:1], 0x8
	s_ashr_i32 s3, s2, 31
	v_mov_b32_e32 v0, 0
	s_lshl_b64 s[10:11], s[2:3], 2
	s_waitcnt lgkmcnt(0)
	s_add_u32 s0, s0, s10
	s_addc_u32 s1, s1, s11
	s_load_b32 s0, s[0:1], 0x0
	s_waitcnt lgkmcnt(0)
	v_mov_b32_e32 v2, s0
	ds_store_b32 v0, v2
.LBB0_3:
	s_or_b32 exec_lo, exec_lo, s4
	v_mov_b32_e32 v0, 0
	s_waitcnt lgkmcnt(0)
	s_barrier
	buffer_gl0_inv
	ds_load_b32 v0, v0
	s_waitcnt lgkmcnt(0)
	v_mad_u64_u32 v[2:3], null, v0, s5, v[1:2]
	s_delay_alu instid0(VALU_DEP_1) | instskip(NEXT) | instid1(VALU_DEP_1)
	v_ashrrev_i32_e32 v3, 31, v2
	v_lshlrev_b64 v[2:3], 1, v[2:3]
	s_delay_alu instid0(VALU_DEP_1) | instskip(NEXT) | instid1(VALU_DEP_2)
	v_add_co_u32 v2, vcc_lo, s8, v2
	v_add_co_ci_u32_e32 v3, vcc_lo, s9, v3, vcc_lo
	global_load_u16 v4, v[2:3], off
	v_mad_u64_u32 v[2:3], null, s2, s5, v[1:2]
	s_delay_alu instid0(VALU_DEP_1) | instskip(NEXT) | instid1(VALU_DEP_1)
	v_ashrrev_i32_e32 v3, 31, v2
	v_lshlrev_b64 v[0:1], 2, v[2:3]
	s_delay_alu instid0(VALU_DEP_1) | instskip(NEXT) | instid1(VALU_DEP_2)
	v_add_co_u32 v0, vcc_lo, s6, v0
	v_add_co_ci_u32_e32 v1, vcc_lo, s7, v1, vcc_lo
	s_waitcnt vmcnt(0)
	v_lshlrev_b32_e32 v2, 16, v4
	global_store_b32 v[0:1], v2, off
.LBB0_4:
	s_nop 0
	s_sendmsg sendmsg(MSG_DEALLOC_VGPRS)
	s_endpgm
	.section	.rodata,"a",@progbits
	.p2align	6, 0x0
	.amdhsa_kernel _Z19embed_kernel_scalarPK14__hip_bfloat16PKiPfii
		.amdhsa_group_segment_fixed_size 4
		.amdhsa_private_segment_fixed_size 0
		.amdhsa_kernarg_size 288
		.amdhsa_user_sgpr_count 14
		.amdhsa_user_sgpr_dispatch_ptr 0
		.amdhsa_user_sgpr_queue_ptr 0
		.amdhsa_user_sgpr_kernarg_segment_ptr 1
		.amdhsa_user_sgpr_dispatch_id 0
		.amdhsa_user_sgpr_private_segment_size 0
		.amdhsa_wavefront_size32 1
		.amdhsa_uses_dynamic_stack 0
		.amdhsa_enable_private_segment 0
		.amdhsa_system_sgpr_workgroup_id_x 1
		.amdhsa_system_sgpr_workgroup_id_y 1
		.amdhsa_system_sgpr_workgroup_id_z 0
		.amdhsa_system_sgpr_workgroup_info 0
		.amdhsa_system_vgpr_workitem_id 0
		.amdhsa_next_free_vgpr 5
		.amdhsa_next_free_sgpr 16
		.amdhsa_reserve_vcc 1
		.amdhsa_float_round_mode_32 0
		.amdhsa_float_round_mode_16_64 0
		.amdhsa_float_denorm_mode_32 3
		.amdhsa_float_denorm_mode_16_64 3
		.amdhsa_dx10_clamp 1
		.amdhsa_ieee_mode 1
		.amdhsa_fp16_overflow 0
		.amdhsa_workgroup_processor_mode 1
		.amdhsa_memory_ordered 1
		.amdhsa_forward_progress 0
		.amdhsa_shared_vgpr_count 0
		.amdhsa_exception_fp_ieee_invalid_op 0
		.amdhsa_exception_fp_denorm_src 0
		.amdhsa_exception_fp_ieee_div_zero 0
		.amdhsa_exception_fp_ieee_overflow 0
		.amdhsa_exception_fp_ieee_underflow 0
		.amdhsa_exception_fp_ieee_inexact 0
		.amdhsa_exception_int_div_zero 0
	.end_amdhsa_kernel
	.text
.Lfunc_end0:
	.size	_Z19embed_kernel_scalarPK14__hip_bfloat16PKiPfii, .Lfunc_end0-_Z19embed_kernel_scalarPK14__hip_bfloat16PKiPfii
                                        ; -- End function
	.section	.AMDGPU.csdata,"",@progbits
; Kernel info:
; codeLenInByte = 312
; NumSgprs: 18
; NumVgprs: 5
; ScratchSize: 0
; MemoryBound: 0
; FloatMode: 240
; IeeeMode: 1
; LDSByteSize: 4 bytes/workgroup (compile time only)
; SGPRBlocks: 2
; VGPRBlocks: 0
; NumSGPRsForWavesPerEU: 18
; NumVGPRsForWavesPerEU: 5
; Occupancy: 16
; WaveLimiterHint : 0
; COMPUTE_PGM_RSRC2:SCRATCH_EN: 0
; COMPUTE_PGM_RSRC2:USER_SGPR: 14
; COMPUTE_PGM_RSRC2:TRAP_HANDLER: 0
; COMPUTE_PGM_RSRC2:TGID_X_EN: 1
; COMPUTE_PGM_RSRC2:TGID_Y_EN: 1
; COMPUTE_PGM_RSRC2:TGID_Z_EN: 0
; COMPUTE_PGM_RSRC2:TIDIG_COMP_CNT: 0
	.section	.text._Z16embed_kernel_vecILi8EEvPK14__hip_bfloat16PKiPfii,"axG",@progbits,_Z16embed_kernel_vecILi8EEvPK14__hip_bfloat16PKiPfii,comdat
	.protected	_Z16embed_kernel_vecILi8EEvPK14__hip_bfloat16PKiPfii ; -- Begin function _Z16embed_kernel_vecILi8EEvPK14__hip_bfloat16PKiPfii
	.globl	_Z16embed_kernel_vecILi8EEvPK14__hip_bfloat16PKiPfii
	.p2align	8
	.type	_Z16embed_kernel_vecILi8EEvPK14__hip_bfloat16PKiPfii,@function
_Z16embed_kernel_vecILi8EEvPK14__hip_bfloat16PKiPfii: ; @_Z16embed_kernel_vecILi8EEvPK14__hip_bfloat16PKiPfii
; %bb.0:
	s_clause 0x1
	s_load_b32 s2, s[0:1], 0x2c
	s_load_b64 s[8:9], s[0:1], 0x18
	s_waitcnt lgkmcnt(0)
	s_and_b32 s2, s2, 0xffff
	s_cmp_lt_i32 s15, s8
	s_mul_i32 s14, s14, s2
	s_cselect_b32 s2, -1, 0
	v_add_lshl_u32 v0, s14, v0, 3
	s_delay_alu instid0(VALU_DEP_1) | instskip(SKIP_1) | instid1(SALU_CYCLE_1)
	v_cmp_gt_i32_e32 vcc_lo, s9, v0
	s_and_b32 s2, s2, vcc_lo
	s_and_saveexec_b32 s3, s2
	s_cbranch_execz .LBB1_11
; %bb.1:
	s_clause 0x1
	s_load_b128 s[4:7], s[0:1], 0x0
	s_load_b64 s[2:3], s[0:1], 0x10
	s_mov_b32 s12, s15
	s_ashr_i32 s13, s15, 31
	v_sub_nc_u32_e32 v1, s9, v0
	s_lshl_b64 s[10:11], s[12:13], 2
	s_delay_alu instid0(VALU_DEP_1) | instskip(SKIP_2) | instid1(VALU_DEP_3)
	v_ashrrev_i32_e32 v2, 1, v1
	v_cmp_gt_i32_e32 vcc_lo, 8, v1
	v_ashrrev_i32_e32 v1, 31, v0
	v_cndmask_b32_e32 v7, 4, v2, vcc_lo
	s_waitcnt lgkmcnt(0)
	s_add_u32 s0, s6, s10
	s_addc_u32 s1, s7, s11
	s_mul_hi_i32 s7, s9, s15
	s_load_b32 s0, s[0:1], 0x0
	s_mul_i32 s6, s9, s15
	s_mov_b32 s1, exec_lo
	s_waitcnt lgkmcnt(0)
	s_mul_hi_i32 s11, s0, s9
	s_mul_i32 s10, s0, s9
	v_cmpx_lt_i32_e32 0, v7
	s_cbranch_execz .LBB1_9
; %bb.2:
	v_mov_b32_e32 v2, 0
	s_mov_b32 s8, exec_lo
	v_cmpx_lt_u32_e32 3, v7
	s_cbranch_execz .LBB1_6
; %bb.3:
	v_lshlrev_b64 v[3:4], 2, v[0:1]
	s_lshl_b64 s[12:13], s[6:7], 2
	v_lshlrev_b64 v[5:6], 1, v[0:1]
	s_add_u32 s0, s2, s12
	s_addc_u32 s14, s3, s13
	s_lshl_b64 s[12:13], s[10:11], 1
	v_add_co_u32 v3, vcc_lo, s0, v3
	s_add_u32 s0, s4, s12
	v_add_co_ci_u32_e32 v4, vcc_lo, s14, v4, vcc_lo
	s_addc_u32 s12, s5, s13
	v_add_co_u32 v5, vcc_lo, s0, v5
	v_add_co_ci_u32_e32 v6, vcc_lo, s12, v6, vcc_lo
	v_add_co_u32 v3, vcc_lo, v3, 28
	v_add_co_ci_u32_e32 v4, vcc_lo, 0, v4, vcc_lo
	s_delay_alu instid0(VALU_DEP_4)
	v_add_co_u32 v5, vcc_lo, v5, 8
	v_and_b32_e32 v2, 0x7ffffffc, v7
	v_add_co_ci_u32_e32 v6, vcc_lo, 0, v6, vcc_lo
	s_mov_b32 s12, 0
	s_mov_b32 s13, 0
	.p2align	6
.LBB1_4:                                ; =>This Inner Loop Header: Depth=1
	global_load_b128 v[8:11], v[5:6], off offset:-8
	v_add_co_u32 v5, vcc_lo, v5, 16
	s_add_i32 s13, s13, 4
	v_add_co_ci_u32_e32 v6, vcc_lo, 0, v6, vcc_lo
	v_cmp_eq_u32_e32 vcc_lo, s13, v2
	s_or_b32 s12, vcc_lo, s12
	s_waitcnt vmcnt(0)
	v_lshlrev_b32_e32 v12, 16, v8
	v_and_b32_e32 v13, 0xffff0000, v8
	v_lshlrev_b32_e32 v14, 16, v9
	v_and_b32_e32 v15, 0xffff0000, v9
	;; [unrolled: 2-line block ×4, first 2 shown]
	s_clause 0x1
	global_store_b128 v[3:4], v[12:15], off offset:-28
	global_store_b128 v[3:4], v[8:11], off offset:-12
	v_add_co_u32 v3, s0, v3, 32
	s_delay_alu instid0(VALU_DEP_1)
	v_add_co_ci_u32_e64 v4, s0, 0, v4, s0
	s_and_not1_b32 exec_lo, exec_lo, s12
	s_cbranch_execnz .LBB1_4
; %bb.5:
	s_or_b32 exec_lo, exec_lo, s12
.LBB1_6:
	s_delay_alu instid0(SALU_CYCLE_1) | instskip(SKIP_2) | instid1(VALU_DEP_1)
	s_or_b32 exec_lo, exec_lo, s8
	v_and_b32_e32 v6, 3, v7
	s_mov_b32 s8, 0
	v_cmp_ne_u32_e32 vcc_lo, 0, v6
	s_and_b32 exec_lo, exec_lo, vcc_lo
	s_cbranch_execz .LBB1_9
; %bb.7:
	v_mov_b32_e32 v3, 0
	s_lshl_b64 s[12:13], s[6:7], 2
	v_lshlrev_b64 v[8:9], 2, v[0:1]
	s_lshl_b64 s[14:15], s[10:11], 1
	v_lshlrev_b64 v[10:11], 1, v[0:1]
	v_lshlrev_b64 v[4:5], 3, v[2:3]
	;; [unrolled: 1-line block ×3, first 2 shown]
	s_delay_alu instid0(VALU_DEP_2) | instskip(NEXT) | instid1(VALU_DEP_3)
	v_add_co_u32 v4, vcc_lo, s12, v4
	v_add_co_ci_u32_e32 v5, vcc_lo, s13, v5, vcc_lo
	s_delay_alu instid0(VALU_DEP_3) | instskip(NEXT) | instid1(VALU_DEP_4)
	v_add_co_u32 v2, vcc_lo, s14, v2
	v_add_co_ci_u32_e32 v3, vcc_lo, s15, v3, vcc_lo
	s_delay_alu instid0(VALU_DEP_4) | instskip(NEXT) | instid1(VALU_DEP_4)
	v_add_co_u32 v4, vcc_lo, v4, v8
	v_add_co_ci_u32_e32 v5, vcc_lo, v5, v9, vcc_lo
	s_delay_alu instid0(VALU_DEP_4) | instskip(NEXT) | instid1(VALU_DEP_4)
	v_add_co_u32 v2, vcc_lo, v2, v10
	v_add_co_ci_u32_e32 v3, vcc_lo, v3, v11, vcc_lo
	s_delay_alu instid0(VALU_DEP_4) | instskip(NEXT) | instid1(VALU_DEP_4)
	v_add_co_u32 v4, vcc_lo, v4, s2
	v_add_co_ci_u32_e32 v5, vcc_lo, s3, v5, vcc_lo
	s_delay_alu instid0(VALU_DEP_4) | instskip(NEXT) | instid1(VALU_DEP_4)
	v_add_co_u32 v8, vcc_lo, v2, s4
	v_add_co_ci_u32_e32 v9, vcc_lo, s5, v3, vcc_lo
	s_delay_alu instid0(VALU_DEP_4) | instskip(NEXT) | instid1(VALU_DEP_4)
	v_add_co_u32 v2, vcc_lo, v4, 4
	v_add_co_ci_u32_e32 v3, vcc_lo, 0, v5, vcc_lo
	s_delay_alu instid0(VALU_DEP_4) | instskip(NEXT) | instid1(VALU_DEP_4)
	v_add_co_u32 v4, vcc_lo, v8, 2
	v_add_co_ci_u32_e32 v5, vcc_lo, 0, v9, vcc_lo
	.p2align	6
.LBB1_8:                                ; =>This Inner Loop Header: Depth=1
	global_load_b32 v9, v[4:5], off offset:-2
	v_add_nc_u32_e32 v6, -1, v6
	v_add_co_u32 v4, vcc_lo, v4, 4
	v_add_co_ci_u32_e32 v5, vcc_lo, 0, v5, vcc_lo
	s_delay_alu instid0(VALU_DEP_3)
	v_cmp_eq_u32_e32 vcc_lo, 0, v6
	s_or_b32 s8, vcc_lo, s8
	s_waitcnt vmcnt(0)
	v_lshlrev_b32_e32 v8, 16, v9
	v_and_b32_e32 v9, 0xffff0000, v9
	global_store_b64 v[2:3], v[8:9], off offset:-4
	v_add_co_u32 v2, s0, v2, 8
	s_delay_alu instid0(VALU_DEP_1)
	v_add_co_ci_u32_e64 v3, s0, 0, v3, s0
	s_and_not1_b32 exec_lo, exec_lo, s8
	s_cbranch_execnz .LBB1_8
.LBB1_9:
	s_or_b32 exec_lo, exec_lo, s1
	v_lshlrev_b32_e32 v2, 1, v7
	v_cmp_gt_i32_e32 vcc_lo, 4, v7
	s_delay_alu instid0(VALU_DEP_2) | instskip(NEXT) | instid1(VALU_DEP_1)
	v_add_nc_u32_e32 v3, v2, v0
	v_cmp_gt_i32_e64 s0, s9, v3
	s_delay_alu instid0(VALU_DEP_1) | instskip(NEXT) | instid1(SALU_CYCLE_1)
	s_and_b32 s0, vcc_lo, s0
	s_and_b32 exec_lo, exec_lo, s0
	s_cbranch_execz .LBB1_11
; %bb.10:
	v_ashrrev_i32_e32 v3, 31, v2
	v_lshlrev_b64 v[4:5], 1, v[0:1]
	s_lshl_b64 s[0:1], s[10:11], 1
	v_lshlrev_b64 v[0:1], 2, v[0:1]
	s_add_u32 s0, s4, s0
	v_lshlrev_b64 v[6:7], 1, v[2:3]
	s_addc_u32 s1, s5, s1
	v_add_co_u32 v4, vcc_lo, s0, v4
	v_add_co_ci_u32_e32 v5, vcc_lo, s1, v5, vcc_lo
	s_lshl_b64 s[0:1], s[6:7], 2
	s_delay_alu instid0(VALU_DEP_2) | instskip(NEXT) | instid1(VALU_DEP_2)
	v_add_co_u32 v4, vcc_lo, v4, v6
	v_add_co_ci_u32_e32 v5, vcc_lo, v5, v7, vcc_lo
	s_add_u32 s0, s2, s0
	v_lshlrev_b64 v[2:3], 2, v[2:3]
	s_addc_u32 s1, s3, s1
	global_load_u16 v4, v[4:5], off
	v_add_co_u32 v0, vcc_lo, s0, v0
	v_add_co_ci_u32_e32 v1, vcc_lo, s1, v1, vcc_lo
	s_delay_alu instid0(VALU_DEP_2) | instskip(NEXT) | instid1(VALU_DEP_2)
	v_add_co_u32 v0, vcc_lo, v0, v2
	v_add_co_ci_u32_e32 v1, vcc_lo, v1, v3, vcc_lo
	s_waitcnt vmcnt(0)
	v_lshlrev_b32_e32 v4, 16, v4
	global_store_b32 v[0:1], v4, off
.LBB1_11:
	s_nop 0
	s_sendmsg sendmsg(MSG_DEALLOC_VGPRS)
	s_endpgm
	.section	.rodata,"a",@progbits
	.p2align	6, 0x0
	.amdhsa_kernel _Z16embed_kernel_vecILi8EEvPK14__hip_bfloat16PKiPfii
		.amdhsa_group_segment_fixed_size 0
		.amdhsa_private_segment_fixed_size 0
		.amdhsa_kernarg_size 288
		.amdhsa_user_sgpr_count 14
		.amdhsa_user_sgpr_dispatch_ptr 0
		.amdhsa_user_sgpr_queue_ptr 0
		.amdhsa_user_sgpr_kernarg_segment_ptr 1
		.amdhsa_user_sgpr_dispatch_id 0
		.amdhsa_user_sgpr_private_segment_size 0
		.amdhsa_wavefront_size32 1
		.amdhsa_uses_dynamic_stack 0
		.amdhsa_enable_private_segment 0
		.amdhsa_system_sgpr_workgroup_id_x 1
		.amdhsa_system_sgpr_workgroup_id_y 1
		.amdhsa_system_sgpr_workgroup_id_z 0
		.amdhsa_system_sgpr_workgroup_info 0
		.amdhsa_system_vgpr_workitem_id 0
		.amdhsa_next_free_vgpr 16
		.amdhsa_next_free_sgpr 16
		.amdhsa_reserve_vcc 1
		.amdhsa_float_round_mode_32 0
		.amdhsa_float_round_mode_16_64 0
		.amdhsa_float_denorm_mode_32 3
		.amdhsa_float_denorm_mode_16_64 3
		.amdhsa_dx10_clamp 1
		.amdhsa_ieee_mode 1
		.amdhsa_fp16_overflow 0
		.amdhsa_workgroup_processor_mode 1
		.amdhsa_memory_ordered 1
		.amdhsa_forward_progress 0
		.amdhsa_shared_vgpr_count 0
		.amdhsa_exception_fp_ieee_invalid_op 0
		.amdhsa_exception_fp_denorm_src 0
		.amdhsa_exception_fp_ieee_div_zero 0
		.amdhsa_exception_fp_ieee_overflow 0
		.amdhsa_exception_fp_ieee_underflow 0
		.amdhsa_exception_fp_ieee_inexact 0
		.amdhsa_exception_int_div_zero 0
	.end_amdhsa_kernel
	.section	.text._Z16embed_kernel_vecILi8EEvPK14__hip_bfloat16PKiPfii,"axG",@progbits,_Z16embed_kernel_vecILi8EEvPK14__hip_bfloat16PKiPfii,comdat
.Lfunc_end1:
	.size	_Z16embed_kernel_vecILi8EEvPK14__hip_bfloat16PKiPfii, .Lfunc_end1-_Z16embed_kernel_vecILi8EEvPK14__hip_bfloat16PKiPfii
                                        ; -- End function
	.section	.AMDGPU.csdata,"",@progbits
; Kernel info:
; codeLenInByte = 924
; NumSgprs: 18
; NumVgprs: 16
; ScratchSize: 0
; MemoryBound: 0
; FloatMode: 240
; IeeeMode: 1
; LDSByteSize: 0 bytes/workgroup (compile time only)
; SGPRBlocks: 2
; VGPRBlocks: 1
; NumSGPRsForWavesPerEU: 18
; NumVGPRsForWavesPerEU: 16
; Occupancy: 16
; WaveLimiterHint : 1
; COMPUTE_PGM_RSRC2:SCRATCH_EN: 0
; COMPUTE_PGM_RSRC2:USER_SGPR: 14
; COMPUTE_PGM_RSRC2:TRAP_HANDLER: 0
; COMPUTE_PGM_RSRC2:TGID_X_EN: 1
; COMPUTE_PGM_RSRC2:TGID_Y_EN: 1
; COMPUTE_PGM_RSRC2:TGID_Z_EN: 0
; COMPUTE_PGM_RSRC2:TIDIG_COMP_CNT: 0
	.section	.text._Z16embed_kernel_vecILi2EEvPK14__hip_bfloat16PKiPfii,"axG",@progbits,_Z16embed_kernel_vecILi2EEvPK14__hip_bfloat16PKiPfii,comdat
	.protected	_Z16embed_kernel_vecILi2EEvPK14__hip_bfloat16PKiPfii ; -- Begin function _Z16embed_kernel_vecILi2EEvPK14__hip_bfloat16PKiPfii
	.globl	_Z16embed_kernel_vecILi2EEvPK14__hip_bfloat16PKiPfii
	.p2align	8
	.type	_Z16embed_kernel_vecILi2EEvPK14__hip_bfloat16PKiPfii,@function
_Z16embed_kernel_vecILi2EEvPK14__hip_bfloat16PKiPfii: ; @_Z16embed_kernel_vecILi2EEvPK14__hip_bfloat16PKiPfii
; %bb.0:
	s_clause 0x1
	s_load_b32 s2, s[0:1], 0x2c
	s_load_b64 s[10:11], s[0:1], 0x18
	s_waitcnt lgkmcnt(0)
	s_and_b32 s2, s2, 0xffff
	s_cmp_lt_i32 s15, s10
	s_mul_i32 s14, s14, s2
	s_cselect_b32 s2, -1, 0
	v_add_lshl_u32 v2, s14, v0, 1
	s_delay_alu instid0(VALU_DEP_1) | instskip(SKIP_1) | instid1(SALU_CYCLE_1)
	v_cmp_gt_i32_e32 vcc_lo, s11, v2
	s_and_b32 s2, s2, vcc_lo
	s_and_saveexec_b32 s3, s2
	s_cbranch_execz .LBB2_6
; %bb.1:
	s_clause 0x1
	s_load_b128 s[4:7], s[0:1], 0x0
	s_load_b64 s[2:3], s[0:1], 0x10
	s_mov_b32 s8, s15
	s_ashr_i32 s9, s15, 31
	v_sub_nc_u32_e32 v0, s11, v2
	s_lshl_b64 s[12:13], s[8:9], 2
	v_ashrrev_i32_e32 v3, 31, v2
	s_mov_b32 s10, 0
	s_delay_alu instid0(VALU_DEP_2) | instskip(SKIP_1) | instid1(VALU_DEP_2)
	v_ashrrev_i32_e32 v1, 1, v0
	v_cmp_gt_i32_e32 vcc_lo, 2, v0
	v_cndmask_b32_e32 v8, 1, v1, vcc_lo
	v_lshlrev_b64 v[0:1], 2, v[2:3]
	v_lshlrev_b64 v[2:3], 1, v[2:3]
	s_waitcnt lgkmcnt(0)
	s_add_u32 s0, s6, s12
	s_addc_u32 s1, s7, s13
	s_mul_hi_i32 s7, s11, s15
	s_load_b32 s0, s[0:1], 0x0
	s_mul_i32 s6, s11, s15
	s_mov_b32 s1, exec_lo
	s_waitcnt lgkmcnt(0)
	s_mul_hi_i32 s9, s0, s11
	s_mul_i32 s8, s0, s11
	v_cmpx_lt_i32_e32 0, v8
	s_cbranch_execz .LBB2_4
; %bb.2:
	s_lshl_b64 s[12:13], s[6:7], 2
	v_mov_b32_e32 v9, v8
	s_add_u32 s0, s2, s12
	s_addc_u32 s11, s3, s13
	s_lshl_b64 s[12:13], s[8:9], 1
	v_add_co_u32 v4, vcc_lo, s0, v0
	s_add_u32 s0, s4, s12
	v_add_co_ci_u32_e32 v5, vcc_lo, s11, v1, vcc_lo
	s_addc_u32 s11, s5, s13
	v_add_co_u32 v6, vcc_lo, s0, v2
	v_add_co_ci_u32_e32 v7, vcc_lo, s11, v3, vcc_lo
	v_add_co_u32 v4, vcc_lo, v4, 4
	v_add_co_ci_u32_e32 v5, vcc_lo, 0, v5, vcc_lo
	s_delay_alu instid0(VALU_DEP_4) | instskip(NEXT) | instid1(VALU_DEP_4)
	v_add_co_u32 v6, vcc_lo, v6, 2
	v_add_co_ci_u32_e32 v7, vcc_lo, 0, v7, vcc_lo
	.p2align	6
.LBB2_3:                                ; =>This Inner Loop Header: Depth=1
	global_load_b32 v11, v[6:7], off offset:-2
	v_add_nc_u32_e32 v9, -1, v9
	v_add_co_u32 v6, vcc_lo, v6, 4
	v_add_co_ci_u32_e32 v7, vcc_lo, 0, v7, vcc_lo
	s_delay_alu instid0(VALU_DEP_3)
	v_cmp_eq_u32_e32 vcc_lo, 0, v9
	s_or_b32 s10, vcc_lo, s10
	s_waitcnt vmcnt(0)
	v_lshlrev_b32_e32 v10, 16, v11
	v_and_b32_e32 v11, 0xffff0000, v11
	global_store_b64 v[4:5], v[10:11], off offset:-4
	v_add_co_u32 v4, s0, v4, 8
	s_delay_alu instid0(VALU_DEP_1)
	v_add_co_ci_u32_e64 v5, s0, 0, v5, s0
	s_and_not1_b32 exec_lo, exec_lo, s10
	s_cbranch_execnz .LBB2_3
.LBB2_4:
	s_or_b32 exec_lo, exec_lo, s1
	v_cmp_gt_i32_e32 vcc_lo, 1, v8
	s_and_b32 exec_lo, exec_lo, vcc_lo
	s_cbranch_execz .LBB2_6
; %bb.5:
	v_lshlrev_b32_e32 v4, 1, v8
	s_lshl_b64 s[0:1], s[8:9], 1
	s_delay_alu instid0(SALU_CYCLE_1) | instskip(SKIP_1) | instid1(VALU_DEP_1)
	s_add_u32 s0, s4, s0
	s_addc_u32 s1, s5, s1
	v_ashrrev_i32_e32 v5, 31, v4
	v_add_co_u32 v2, vcc_lo, s0, v2
	v_add_co_ci_u32_e32 v3, vcc_lo, s1, v3, vcc_lo
	s_delay_alu instid0(VALU_DEP_3) | instskip(SKIP_1) | instid1(SALU_CYCLE_1)
	v_lshlrev_b64 v[6:7], 1, v[4:5]
	s_lshl_b64 s[0:1], s[6:7], 2
	s_add_u32 s0, s2, s0
	s_addc_u32 s1, s3, s1
	s_delay_alu instid0(VALU_DEP_1) | instskip(NEXT) | instid1(VALU_DEP_2)
	v_add_co_u32 v2, vcc_lo, v2, v6
	v_add_co_ci_u32_e32 v3, vcc_lo, v3, v7, vcc_lo
	v_add_co_u32 v0, vcc_lo, s0, v0
	v_add_co_ci_u32_e32 v1, vcc_lo, s1, v1, vcc_lo
	global_load_u16 v6, v[2:3], off
	v_lshlrev_b64 v[2:3], 2, v[4:5]
	s_delay_alu instid0(VALU_DEP_1) | instskip(NEXT) | instid1(VALU_DEP_2)
	v_add_co_u32 v0, vcc_lo, v0, v2
	v_add_co_ci_u32_e32 v1, vcc_lo, v1, v3, vcc_lo
	s_waitcnt vmcnt(0)
	v_lshlrev_b32_e32 v4, 16, v6
	global_store_b32 v[0:1], v4, off
.LBB2_6:
	s_nop 0
	s_sendmsg sendmsg(MSG_DEALLOC_VGPRS)
	s_endpgm
	.section	.rodata,"a",@progbits
	.p2align	6, 0x0
	.amdhsa_kernel _Z16embed_kernel_vecILi2EEvPK14__hip_bfloat16PKiPfii
		.amdhsa_group_segment_fixed_size 0
		.amdhsa_private_segment_fixed_size 0
		.amdhsa_kernarg_size 288
		.amdhsa_user_sgpr_count 14
		.amdhsa_user_sgpr_dispatch_ptr 0
		.amdhsa_user_sgpr_queue_ptr 0
		.amdhsa_user_sgpr_kernarg_segment_ptr 1
		.amdhsa_user_sgpr_dispatch_id 0
		.amdhsa_user_sgpr_private_segment_size 0
		.amdhsa_wavefront_size32 1
		.amdhsa_uses_dynamic_stack 0
		.amdhsa_enable_private_segment 0
		.amdhsa_system_sgpr_workgroup_id_x 1
		.amdhsa_system_sgpr_workgroup_id_y 1
		.amdhsa_system_sgpr_workgroup_id_z 0
		.amdhsa_system_sgpr_workgroup_info 0
		.amdhsa_system_vgpr_workitem_id 0
		.amdhsa_next_free_vgpr 12
		.amdhsa_next_free_sgpr 16
		.amdhsa_reserve_vcc 1
		.amdhsa_float_round_mode_32 0
		.amdhsa_float_round_mode_16_64 0
		.amdhsa_float_denorm_mode_32 3
		.amdhsa_float_denorm_mode_16_64 3
		.amdhsa_dx10_clamp 1
		.amdhsa_ieee_mode 1
		.amdhsa_fp16_overflow 0
		.amdhsa_workgroup_processor_mode 1
		.amdhsa_memory_ordered 1
		.amdhsa_forward_progress 0
		.amdhsa_shared_vgpr_count 0
		.amdhsa_exception_fp_ieee_invalid_op 0
		.amdhsa_exception_fp_denorm_src 0
		.amdhsa_exception_fp_ieee_div_zero 0
		.amdhsa_exception_fp_ieee_overflow 0
		.amdhsa_exception_fp_ieee_underflow 0
		.amdhsa_exception_fp_ieee_inexact 0
		.amdhsa_exception_int_div_zero 0
	.end_amdhsa_kernel
	.section	.text._Z16embed_kernel_vecILi2EEvPK14__hip_bfloat16PKiPfii,"axG",@progbits,_Z16embed_kernel_vecILi2EEvPK14__hip_bfloat16PKiPfii,comdat
.Lfunc_end2:
	.size	_Z16embed_kernel_vecILi2EEvPK14__hip_bfloat16PKiPfii, .Lfunc_end2-_Z16embed_kernel_vecILi2EEvPK14__hip_bfloat16PKiPfii
                                        ; -- End function
	.section	.AMDGPU.csdata,"",@progbits
; Kernel info:
; codeLenInByte = 532
; NumSgprs: 18
; NumVgprs: 12
; ScratchSize: 0
; MemoryBound: 0
; FloatMode: 240
; IeeeMode: 1
; LDSByteSize: 0 bytes/workgroup (compile time only)
; SGPRBlocks: 2
; VGPRBlocks: 1
; NumSGPRsForWavesPerEU: 18
; NumVGPRsForWavesPerEU: 12
; Occupancy: 16
; WaveLimiterHint : 1
; COMPUTE_PGM_RSRC2:SCRATCH_EN: 0
; COMPUTE_PGM_RSRC2:USER_SGPR: 14
; COMPUTE_PGM_RSRC2:TRAP_HANDLER: 0
; COMPUTE_PGM_RSRC2:TGID_X_EN: 1
; COMPUTE_PGM_RSRC2:TGID_Y_EN: 1
; COMPUTE_PGM_RSRC2:TGID_Z_EN: 0
; COMPUTE_PGM_RSRC2:TIDIG_COMP_CNT: 0
	.text
	.p2alignl 7, 3214868480
	.fill 96, 4, 3214868480
	.type	__hip_cuid_c9dcd5e947523eb8,@object ; @__hip_cuid_c9dcd5e947523eb8
	.section	.bss,"aw",@nobits
	.globl	__hip_cuid_c9dcd5e947523eb8
__hip_cuid_c9dcd5e947523eb8:
	.byte	0                               ; 0x0
	.size	__hip_cuid_c9dcd5e947523eb8, 1

	.ident	"AMD clang version 19.0.0git (https://github.com/RadeonOpenCompute/llvm-project roc-6.4.0 25133 c7fe45cf4b819c5991fe208aaa96edf142730f1d)"
	.section	".note.GNU-stack","",@progbits
	.addrsig
	.addrsig_sym __hip_cuid_c9dcd5e947523eb8
	.amdgpu_metadata
---
amdhsa.kernels:
  - .args:
      - .actual_access:  read_only
        .address_space:  global
        .offset:         0
        .size:           8
        .value_kind:     global_buffer
      - .actual_access:  read_only
        .address_space:  global
        .offset:         8
        .size:           8
        .value_kind:     global_buffer
      - .actual_access:  write_only
        .address_space:  global
        .offset:         16
        .size:           8
        .value_kind:     global_buffer
      - .offset:         24
        .size:           4
        .value_kind:     by_value
      - .offset:         28
        .size:           4
        .value_kind:     by_value
      - .offset:         32
        .size:           4
        .value_kind:     hidden_block_count_x
      - .offset:         36
        .size:           4
        .value_kind:     hidden_block_count_y
      - .offset:         40
        .size:           4
        .value_kind:     hidden_block_count_z
      - .offset:         44
        .size:           2
        .value_kind:     hidden_group_size_x
      - .offset:         46
        .size:           2
        .value_kind:     hidden_group_size_y
      - .offset:         48
        .size:           2
        .value_kind:     hidden_group_size_z
      - .offset:         50
        .size:           2
        .value_kind:     hidden_remainder_x
      - .offset:         52
        .size:           2
        .value_kind:     hidden_remainder_y
      - .offset:         54
        .size:           2
        .value_kind:     hidden_remainder_z
      - .offset:         72
        .size:           8
        .value_kind:     hidden_global_offset_x
      - .offset:         80
        .size:           8
        .value_kind:     hidden_global_offset_y
      - .offset:         88
        .size:           8
        .value_kind:     hidden_global_offset_z
      - .offset:         96
        .size:           2
        .value_kind:     hidden_grid_dims
    .group_segment_fixed_size: 4
    .kernarg_segment_align: 8
    .kernarg_segment_size: 288
    .language:       OpenCL C
    .language_version:
      - 2
      - 0
    .max_flat_workgroup_size: 256
    .name:           _Z19embed_kernel_scalarPK14__hip_bfloat16PKiPfii
    .private_segment_fixed_size: 0
    .sgpr_count:     18
    .sgpr_spill_count: 0
    .symbol:         _Z19embed_kernel_scalarPK14__hip_bfloat16PKiPfii.kd
    .uniform_work_group_size: 1
    .uses_dynamic_stack: false
    .vgpr_count:     5
    .vgpr_spill_count: 0
    .wavefront_size: 32
    .workgroup_processor_mode: 1
  - .args:
      - .actual_access:  read_only
        .address_space:  global
        .offset:         0
        .size:           8
        .value_kind:     global_buffer
      - .actual_access:  read_only
        .address_space:  global
        .offset:         8
        .size:           8
        .value_kind:     global_buffer
      - .actual_access:  write_only
        .address_space:  global
        .offset:         16
        .size:           8
        .value_kind:     global_buffer
      - .offset:         24
        .size:           4
        .value_kind:     by_value
      - .offset:         28
        .size:           4
        .value_kind:     by_value
      - .offset:         32
        .size:           4
        .value_kind:     hidden_block_count_x
      - .offset:         36
        .size:           4
        .value_kind:     hidden_block_count_y
      - .offset:         40
        .size:           4
        .value_kind:     hidden_block_count_z
      - .offset:         44
        .size:           2
        .value_kind:     hidden_group_size_x
      - .offset:         46
        .size:           2
        .value_kind:     hidden_group_size_y
      - .offset:         48
        .size:           2
        .value_kind:     hidden_group_size_z
      - .offset:         50
        .size:           2
        .value_kind:     hidden_remainder_x
      - .offset:         52
        .size:           2
        .value_kind:     hidden_remainder_y
      - .offset:         54
        .size:           2
        .value_kind:     hidden_remainder_z
      - .offset:         72
        .size:           8
        .value_kind:     hidden_global_offset_x
      - .offset:         80
        .size:           8
        .value_kind:     hidden_global_offset_y
      - .offset:         88
        .size:           8
        .value_kind:     hidden_global_offset_z
      - .offset:         96
        .size:           2
        .value_kind:     hidden_grid_dims
    .group_segment_fixed_size: 0
    .kernarg_segment_align: 8
    .kernarg_segment_size: 288
    .language:       OpenCL C
    .language_version:
      - 2
      - 0
    .max_flat_workgroup_size: 256
    .name:           _Z16embed_kernel_vecILi8EEvPK14__hip_bfloat16PKiPfii
    .private_segment_fixed_size: 0
    .sgpr_count:     18
    .sgpr_spill_count: 0
    .symbol:         _Z16embed_kernel_vecILi8EEvPK14__hip_bfloat16PKiPfii.kd
    .uniform_work_group_size: 1
    .uses_dynamic_stack: false
    .vgpr_count:     16
    .vgpr_spill_count: 0
    .wavefront_size: 32
    .workgroup_processor_mode: 1
  - .args:
      - .actual_access:  read_only
        .address_space:  global
        .offset:         0
        .size:           8
        .value_kind:     global_buffer
      - .actual_access:  read_only
        .address_space:  global
        .offset:         8
        .size:           8
        .value_kind:     global_buffer
      - .actual_access:  write_only
        .address_space:  global
        .offset:         16
        .size:           8
        .value_kind:     global_buffer
      - .offset:         24
        .size:           4
        .value_kind:     by_value
      - .offset:         28
        .size:           4
        .value_kind:     by_value
      - .offset:         32
        .size:           4
        .value_kind:     hidden_block_count_x
      - .offset:         36
        .size:           4
        .value_kind:     hidden_block_count_y
      - .offset:         40
        .size:           4
        .value_kind:     hidden_block_count_z
      - .offset:         44
        .size:           2
        .value_kind:     hidden_group_size_x
      - .offset:         46
        .size:           2
        .value_kind:     hidden_group_size_y
      - .offset:         48
        .size:           2
        .value_kind:     hidden_group_size_z
      - .offset:         50
        .size:           2
        .value_kind:     hidden_remainder_x
      - .offset:         52
        .size:           2
        .value_kind:     hidden_remainder_y
      - .offset:         54
        .size:           2
        .value_kind:     hidden_remainder_z
      - .offset:         72
        .size:           8
        .value_kind:     hidden_global_offset_x
      - .offset:         80
        .size:           8
        .value_kind:     hidden_global_offset_y
      - .offset:         88
        .size:           8
        .value_kind:     hidden_global_offset_z
      - .offset:         96
        .size:           2
        .value_kind:     hidden_grid_dims
    .group_segment_fixed_size: 0
    .kernarg_segment_align: 8
    .kernarg_segment_size: 288
    .language:       OpenCL C
    .language_version:
      - 2
      - 0
    .max_flat_workgroup_size: 256
    .name:           _Z16embed_kernel_vecILi2EEvPK14__hip_bfloat16PKiPfii
    .private_segment_fixed_size: 0
    .sgpr_count:     18
    .sgpr_spill_count: 0
    .symbol:         _Z16embed_kernel_vecILi2EEvPK14__hip_bfloat16PKiPfii.kd
    .uniform_work_group_size: 1
    .uses_dynamic_stack: false
    .vgpr_count:     12
    .vgpr_spill_count: 0
    .wavefront_size: 32
    .workgroup_processor_mode: 1
amdhsa.target:   amdgcn-amd-amdhsa--gfx1100
amdhsa.version:
  - 1
  - 2
...

	.end_amdgpu_metadata
